;; amdgpu-corpus repo=triton-lang/triton kind=triton arch=gfx950 opt=O3 lang=triton
	.amdgcn_target "amdgcn-amd-amdhsa--gfx950"
	.amdhsa_code_object_version 5
	.text
	.globl	kernel_up                       ; -- Begin function kernel_up
	.p2align	8
	.type	kernel_up,@function
kernel_up:                              ; @kernel_up
.Lfunc_begin0:
	.cfi_sections .debug_frame
	.cfi_startproc
; %bb.7:
	.file	1 "/root/src/amdgpu-assembly/repos/triton-lang__triton-aot" "row_increment_pipelined.py"
	.loc	1 8 0 prologue_end              ; row_increment_pipelined.py:8:0
	s_load_dwordx2 s[2:3], s[0:1], 0x0
	s_load_dwordx8 s[4:11], s[0:1], 0x8
	s_load_dwordx2 s[12:13], s[0:1], 0x28
	s_load_dword s14, s[0:1], 0x30
	s_waitcnt lgkmcnt(0)
	s_branch .LBB0_0
	.loc	1 0 0 is_stmt 0                 ; :0:0
.Ltmp0:
	.p2align	8
; %bb.8:
.LBB0_0:
.Ltmp1:
	.loc	1 20 30 is_stmt 1               ; row_increment_pipelined.py:20:30
	v_readfirstlane_b32 s15, v0
	.loc	1 11 31                         ; row_increment_pipelined.py:11:31
	v_and_b32_e32 v0, 63, v0
	.loc	1 13 49                         ; row_increment_pipelined.py:13:49
	s_cmp_gt_i32 s8, 0
	.loc	1 11 31                         ; row_increment_pipelined.py:11:31
	v_and_or_b32 v0, s15, 64, v0
	.loc	1 12 25                         ; row_increment_pipelined.py:12:25
	v_cmp_gt_i32_e64 s[0:1], s9, v0
	.loc	1 13 49                         ; row_increment_pipelined.py:13:49
	s_cselect_b64 s[10:11], -1, 0
	.loc	1 16 22                         ; row_increment_pipelined.py:16:22
	v_lshlrev_b32_e32 v0, 2, v0
	v_bfrev_b32_e32 v1, 1
	.loc	1 13 49                         ; row_increment_pipelined.py:13:49
	s_and_b64 vcc, s[10:11], s[0:1]
	.loc	1 16 22                         ; row_increment_pipelined.py:16:22
	s_and_b32 s17, s5, 0xffff
	s_mov_b32 s19, 0x27000
	s_mov_b32 s18, 0x7ffffffe
	;; [unrolled: 1-line block ×3, first 2 shown]
	v_cndmask_b32_e32 v1, v1, v0, vcc
	buffer_load_dword v1, v1, s[16:19], 0 offen
	v_mov_b32_e32 v2, 0xff800000
	.loc	1 13 49                         ; row_increment_pipelined.py:13:49
	s_sub_i32 s13, s8, s14
	s_cmp_gt_i32 s13, 0
	s_mul_i32 s12, s14, s7
	.loc	1 16 22                         ; row_increment_pipelined.py:16:22
	s_waitcnt vmcnt(0)
	v_cndmask_b32_e32 v1, v2, v1, vcc
	.loc	1 13 49                         ; row_increment_pipelined.py:13:49
	s_cbranch_scc1 .LBB0_2
; %bb.1:                                ; %.._crit_edge_crit_edge
	.loc	1 20 30                         ; row_increment_pipelined.py:20:30
	s_and_b32 s9, s15, 0x80
	.loc	1 13 49                         ; row_increment_pipelined.py:13:49
	s_mul_i32 s7, s14, s7
	s_cbranch_execz .LBB0_3
	s_branch .LBB0_6
.LBB0_2:
                                        ; implicit-def: $sgpr9
                                        ; implicit-def: $sgpr7
.LBB0_3:                                ; %.lr.ph
	.loc	1 0 49 is_stmt 0                ; row_increment_pipelined.py:0:49
	s_and_b32 s9, s15, 0x80
	v_bfrev_b32_e32 v3, 1
	s_cmp_eq_u32 s9, 0
	v_cndmask_b32_e64 v2, v3, v0, s[0:1]
	s_cselect_b64 vcc, -1, 0
	.loc	1 13 49 is_stmt 1               ; row_increment_pipelined.py:13:49
	s_mul_i32 s15, s14, s6
	s_mov_b32 s10, 0
	v_cndmask_b32_e32 v3, v3, v2, vcc
	v_mov_b32_e32 v4, 0xff800000
	s_mov_b32 s6, s15
	s_mov_b32 s20, 0
.LBB0_4:                                ; =>This Inner Loop Header: Depth=1
	.loc	1 14 36                         ; row_increment_pipelined.py:14:36
	s_ashr_i32 s7, s6, 31
	.loc	1 13 49                         ; row_increment_pipelined.py:13:49
	s_add_i32 s20, s20, s14
	.loc	1 14 36                         ; row_increment_pipelined.py:14:36
	s_lshl_b64 s[16:17], s[6:7], 2
	s_add_u32 s16, s4, s16
	s_addc_u32 s7, s5, s17
	.loc	1 16 22                         ; row_increment_pipelined.py:16:22
	s_and_b32 s17, s7, 0xffff
	buffer_load_dword v5, v2, s[16:19], 0 offen
	.loc	1 18 44                         ; row_increment_pipelined.py:18:44
	s_ashr_i32 s11, s10, 31
	s_lshl_b64 s[16:17], s[10:11], 2
	s_add_u32 s16, s2, s16
	s_addc_u32 s7, s3, s17
	.loc	1 17 15                         ; row_increment_pipelined.py:17:15
	v_add_f32_e32 v1, 1.0, v1
	.loc	1 13 49                         ; row_increment_pipelined.py:13:49
	s_add_i32 s10, s10, s12
	s_add_i32 s6, s6, s15
	.loc	1 20 30                         ; row_increment_pipelined.py:20:30
	s_and_b32 s17, s7, 0xffff
	buffer_store_dword v1, v3, s[16:19], 0 offen
	.loc	1 13 49                         ; row_increment_pipelined.py:13:49
	s_cmp_lt_i32 s20, s13
	.loc	1 16 22                         ; row_increment_pipelined.py:16:22
	s_waitcnt vmcnt(1)
	v_cndmask_b32_e64 v5, v4, v5, s[0:1]
	v_mov_b32_e32 v1, v5
	.loc	1 13 49                         ; row_increment_pipelined.py:13:49
	s_cbranch_scc1 .LBB0_4
; %bb.5:                                ; %Flow
	.loc	1 0 49 is_stmt 0                ; row_increment_pipelined.py:0:49
	v_mov_b32_e32 v1, v5
	s_mov_b32 s7, s12
.LBB0_6:                                ; %._crit_edge
	.loc	1 13 49 is_stmt 1               ; row_increment_pipelined.py:13:49
	s_cmp_gt_i32 s14, -1
	s_cselect_b32 s4, -1, 1
	s_abs_i32 s5, s14
	v_cvt_f32_u32_e32 v2, s5
	s_add_i32 s6, s14, s8
	s_add_i32 s6, s6, s4
	s_sub_i32 s4, 0, s5
	v_rcp_iflag_f32_e32 v2, v2
	s_xor_b32 s8, s6, s14
	s_abs_i32 s6, s6
	s_ashr_i32 s8, s8, 31
	v_mul_f32_e32 v2, 0x4f7ffffe, v2
	v_cvt_u32_f32_e32 v2, v2
	.loc	1 17 15                         ; row_increment_pipelined.py:17:15
	v_add_f32_e32 v1, 1.0, v1
	.loc	1 13 49                         ; row_increment_pipelined.py:13:49
	v_readfirstlane_b32 s10, v2
	s_mul_i32 s4, s4, s10
	s_mul_hi_u32 s4, s10, s4
	s_add_i32 s10, s10, s4
	s_mul_hi_u32 s4, s6, s10
	s_mul_i32 s10, s4, s5
	s_sub_i32 s6, s6, s10
	s_add_i32 s11, s4, 1
	s_sub_i32 s10, s6, s5
	s_cmp_ge_u32 s6, s5
	s_cselect_b32 s4, s11, s4
	s_cselect_b32 s6, s10, s6
	s_add_i32 s10, s4, 1
	s_cmp_ge_u32 s6, s5
	s_cselect_b32 s4, s10, s4
	s_xor_b32 s4, s4, s8
	s_sub_i32 s4, s4, s8
	s_add_i32 s5, s4, -1
	s_max_i32 s5, s5, 0
	s_cmp_gt_i32 s4, 0
	.loc	1 18 54                         ; row_increment_pipelined.py:18:54
	s_mul_i32 s4, s7, s5
	.loc	1 13 49                         ; row_increment_pipelined.py:13:49
	s_cselect_b64 s[10:11], -1, 0
	.loc	1 18 44                         ; row_increment_pipelined.py:18:44
	s_ashr_i32 s5, s4, 31
	s_lshl_b64 s[4:5], s[4:5], 2
	s_add_u32 s4, s2, s4
	s_addc_u32 s2, s3, s5
	.loc	1 20 30                         ; row_increment_pipelined.py:20:30
	s_and_b32 s5, s2, 0xffff
	s_cmp_eq_u32 s9, 0
	s_cselect_b64 s[2:3], -1, 0
	s_and_b64 s[2:3], s[2:3], s[10:11]
	v_bfrev_b32_e32 v2, 1
	s_and_b64 vcc, s[0:1], s[2:3]
	s_mov_b32 s7, 0x27000
	s_mov_b32 s6, 0x7ffffffe
	v_cndmask_b32_e32 v0, v2, v0, vcc
	buffer_store_dword v1, v0, s[4:7], 0 offen
	.loc	1 13 4                          ; row_increment_pipelined.py:13:4
	s_endpgm
.Ltmp2:
	.section	.rodata,"a",@progbits
	.p2align	6, 0x0
	.amdhsa_kernel kernel_up
		.amdhsa_group_segment_fixed_size 0
		.amdhsa_private_segment_fixed_size 0
		.amdhsa_kernarg_size 304
		.amdhsa_user_sgpr_count 15
		.amdhsa_user_sgpr_dispatch_ptr 0
		.amdhsa_user_sgpr_queue_ptr 0
		.amdhsa_user_sgpr_kernarg_segment_ptr 1
		.amdhsa_user_sgpr_dispatch_id 0
		.amdhsa_user_sgpr_kernarg_preload_length 13
		.amdhsa_user_sgpr_kernarg_preload_offset 0
		.amdhsa_user_sgpr_private_segment_size 0
		.amdhsa_uses_dynamic_stack 0
		.amdhsa_enable_private_segment 0
		.amdhsa_system_sgpr_workgroup_id_x 1
		.amdhsa_system_sgpr_workgroup_id_y 0
		.amdhsa_system_sgpr_workgroup_id_z 0
		.amdhsa_system_sgpr_workgroup_info 0
		.amdhsa_system_vgpr_workitem_id 0
		.amdhsa_next_free_vgpr 6
		.amdhsa_next_free_sgpr 21
		.amdhsa_accum_offset 8
		.amdhsa_reserve_vcc 1
		.amdhsa_reserve_xnack_mask 1
		.amdhsa_float_round_mode_32 0
		.amdhsa_float_round_mode_16_64 0
		.amdhsa_float_denorm_mode_32 3
		.amdhsa_float_denorm_mode_16_64 3
		.amdhsa_dx10_clamp 1
		.amdhsa_ieee_mode 1
		.amdhsa_fp16_overflow 0
		.amdhsa_tg_split 0
		.amdhsa_exception_fp_ieee_invalid_op 0
		.amdhsa_exception_fp_denorm_src 0
		.amdhsa_exception_fp_ieee_div_zero 0
		.amdhsa_exception_fp_ieee_overflow 0
		.amdhsa_exception_fp_ieee_underflow 0
		.amdhsa_exception_fp_ieee_inexact 0
		.amdhsa_exception_int_div_zero 0
	.end_amdhsa_kernel
	.text
.Lfunc_end0:
	.size	kernel_up, .Lfunc_end0-kernel_up
	.cfi_endproc
                                        ; -- End function
	.set kernel_up.num_vgpr, 6
	.set kernel_up.num_agpr, 0
	.set kernel_up.numbered_sgpr, 21
	.set kernel_up.num_named_barrier, 0
	.set kernel_up.private_seg_size, 0
	.set kernel_up.uses_vcc, 1
	.set kernel_up.uses_flat_scratch, 0
	.set kernel_up.has_dyn_sized_stack, 0
	.set kernel_up.has_recursion, 0
	.set kernel_up.has_indirect_call, 0
	.section	.AMDGPU.csdata,"",@progbits
; Kernel info:
; codeLenInByte = 784
; TotalNumSgprs: 27
; NumVgprs: 6
; NumAgprs: 0
; TotalNumVgprs: 6
; ScratchSize: 0
; MemoryBound: 0
; FloatMode: 240
; IeeeMode: 1
; LDSByteSize: 0 bytes/workgroup (compile time only)
; SGPRBlocks: 3
; VGPRBlocks: 0
; NumSGPRsForWavesPerEU: 27
; NumVGPRsForWavesPerEU: 6
; AccumOffset: 8
; Occupancy: 8
; WaveLimiterHint : 0
; COMPUTE_PGM_RSRC2:SCRATCH_EN: 0
; COMPUTE_PGM_RSRC2:USER_SGPR: 15
; COMPUTE_PGM_RSRC2:TRAP_HANDLER: 0
; COMPUTE_PGM_RSRC2:TGID_X_EN: 1
; COMPUTE_PGM_RSRC2:TGID_Y_EN: 0
; COMPUTE_PGM_RSRC2:TGID_Z_EN: 0
; COMPUTE_PGM_RSRC2:TIDIG_COMP_CNT: 0
; COMPUTE_PGM_RSRC3_GFX90A:ACCUM_OFFSET: 1
; COMPUTE_PGM_RSRC3_GFX90A:TG_SPLIT: 0
	.text
	.p2alignl 6, 3212836864
	.fill 256, 4, 3212836864
	.section	.AMDGPU.gpr_maximums,"",@progbits
	.set amdgpu.max_num_vgpr, 0
	.set amdgpu.max_num_agpr, 0
	.set amdgpu.max_num_sgpr, 0
	.set amdgpu.max_num_named_barrier, 0
	.text
	.section	.debug_abbrev,"",@progbits
	.byte	1                               ; Abbreviation Code
	.byte	17                              ; DW_TAG_compile_unit
	.byte	0                               ; DW_CHILDREN_no
	.byte	37                              ; DW_AT_producer
	.byte	14                              ; DW_FORM_strp
	.byte	19                              ; DW_AT_language
	.byte	5                               ; DW_FORM_data2
	.byte	3                               ; DW_AT_name
	.byte	14                              ; DW_FORM_strp
	.byte	16                              ; DW_AT_stmt_list
	.byte	23                              ; DW_FORM_sec_offset
	.byte	27                              ; DW_AT_comp_dir
	.byte	14                              ; DW_FORM_strp
	.byte	17                              ; DW_AT_low_pc
	.byte	1                               ; DW_FORM_addr
	.byte	18                              ; DW_AT_high_pc
	.byte	6                               ; DW_FORM_data4
	.byte	0                               ; EOM(1)
	.byte	0                               ; EOM(2)
	;; [unrolled: 1-line block ×3, first 2 shown]
	.section	.debug_info,"",@progbits
.Lcu_begin0:
	.long	.Ldebug_info_end0-.Ldebug_info_start0 ; Length of Unit
.Ldebug_info_start0:
	.short	4                               ; DWARF version number
	.long	.debug_abbrev                   ; Offset Into Abbrev. Section
	.byte	8                               ; Address Size (in bytes)
	.byte	1                               ; Abbrev [1] 0xb:0x1f DW_TAG_compile_unit
	.long	.Linfo_string0                  ; DW_AT_producer
	.short	2                               ; DW_AT_language
	.long	.Linfo_string1                  ; DW_AT_name
	.long	.Lline_table_start0             ; DW_AT_stmt_list
	.long	.Linfo_string2                  ; DW_AT_comp_dir
	.quad	.Lfunc_begin0                   ; DW_AT_low_pc
	.long	.Lfunc_end0-.Lfunc_begin0       ; DW_AT_high_pc
.Ldebug_info_end0:
	.section	.debug_str,"MS",@progbits,1
.Linfo_string0:
	.asciz	"triton"                        ; string offset=0
.Linfo_string1:
	.asciz	"row_increment_pipelined.py"    ; string offset=7
.Linfo_string2:
	.asciz	"/root/src/amdgpu-assembly/repos/triton-lang__triton-aot" ; string offset=34
	.section	".note.GNU-stack","",@progbits
	.amdgpu_metadata
---
amdhsa.kernels:
  - .agpr_count:     0
    .args:
      - .address_space:  global
        .offset:         0
        .size:           8
        .value_kind:     global_buffer
      - .address_space:  global
        .offset:         8
        .size:           8
        .value_kind:     global_buffer
      - .offset:         16
        .size:           4
        .value_kind:     by_value
      - .offset:         20
        .size:           4
        .value_kind:     by_value
      - .offset:         24
        .size:           4
        .value_kind:     by_value
      - .offset:         28
        .size:           4
        .value_kind:     by_value
      - .address_space:  global
        .offset:         32
        .size:           8
        .value_kind:     global_buffer
      - .address_space:  global
        .offset:         40
        .size:           8
        .value_kind:     global_buffer
      - .offset:         48
        .size:           4
        .value_kind:     hidden_block_count_x
      - .offset:         52
        .size:           4
        .value_kind:     hidden_block_count_y
      - .offset:         56
        .size:           4
        .value_kind:     hidden_block_count_z
      - .offset:         60
        .size:           2
        .value_kind:     hidden_group_size_x
      - .offset:         62
        .size:           2
        .value_kind:     hidden_group_size_y
      - .offset:         64
        .size:           2
        .value_kind:     hidden_group_size_z
      - .offset:         66
        .size:           2
        .value_kind:     hidden_remainder_x
      - .offset:         68
        .size:           2
        .value_kind:     hidden_remainder_y
      - .offset:         70
        .size:           2
        .value_kind:     hidden_remainder_z
      - .offset:         88
        .size:           8
        .value_kind:     hidden_global_offset_x
      - .offset:         96
        .size:           8
        .value_kind:     hidden_global_offset_y
      - .offset:         104
        .size:           8
        .value_kind:     hidden_global_offset_z
      - .offset:         112
        .size:           2
        .value_kind:     hidden_grid_dims
    .group_segment_fixed_size: 0
    .kernarg_segment_align: 8
    .kernarg_segment_size: 304
    .max_flat_workgroup_size: 256
    .name:           kernel_up
    .private_segment_fixed_size: 0
    .sgpr_count:     27
    .sgpr_spill_count: 0
    .symbol:         kernel_up.kd
    .uniform_work_group_size: 1
    .uses_dynamic_stack: false
    .vgpr_count:     6
    .vgpr_spill_count: 0
    .wavefront_size: 64
amdhsa.target:   amdgcn-amd-amdhsa--gfx950
amdhsa.version:
  - 1
  - 2
...

	.end_amdgpu_metadata
	.section	.debug_line,"",@progbits
.Lline_table_start0:
